;; amdgpu-corpus repo=ROCm/rocFFT kind=compiled arch=gfx1030 opt=O3
	.text
	.amdgcn_target "amdgcn-amd-amdhsa--gfx1030"
	.amdhsa_code_object_version 6
	.protected	fft_rtc_back_len1008_factors_2_2_2_2_3_3_7_wgs_56_tpt_56_halfLds_half_ip_CI_unitstride_sbrr_dirReg ; -- Begin function fft_rtc_back_len1008_factors_2_2_2_2_3_3_7_wgs_56_tpt_56_halfLds_half_ip_CI_unitstride_sbrr_dirReg
	.globl	fft_rtc_back_len1008_factors_2_2_2_2_3_3_7_wgs_56_tpt_56_halfLds_half_ip_CI_unitstride_sbrr_dirReg
	.p2align	8
	.type	fft_rtc_back_len1008_factors_2_2_2_2_3_3_7_wgs_56_tpt_56_halfLds_half_ip_CI_unitstride_sbrr_dirReg,@function
fft_rtc_back_len1008_factors_2_2_2_2_3_3_7_wgs_56_tpt_56_halfLds_half_ip_CI_unitstride_sbrr_dirReg: ; @fft_rtc_back_len1008_factors_2_2_2_2_3_3_7_wgs_56_tpt_56_halfLds_half_ip_CI_unitstride_sbrr_dirReg
; %bb.0:
	s_clause 0x2
	s_load_dwordx4 s[8:11], s[4:5], 0x0
	s_load_dwordx2 s[2:3], s[4:5], 0x50
	s_load_dwordx2 s[12:13], s[4:5], 0x18
	v_mul_u32_u24_e32 v1, 0x493, v0
	v_mov_b32_e32 v3, 0
	v_add_nc_u32_sdwa v5, s6, v1 dst_sel:DWORD dst_unused:UNUSED_PAD src0_sel:DWORD src1_sel:WORD_1
	v_mov_b32_e32 v1, 0
	v_mov_b32_e32 v6, v3
	v_mov_b32_e32 v2, 0
	s_waitcnt lgkmcnt(0)
	v_cmp_lt_u64_e64 s0, s[10:11], 2
	s_and_b32 vcc_lo, exec_lo, s0
	s_cbranch_vccnz .LBB0_8
; %bb.1:
	s_load_dwordx2 s[0:1], s[4:5], 0x10
	v_mov_b32_e32 v1, 0
	s_add_u32 s6, s12, 8
	v_mov_b32_e32 v2, 0
	s_addc_u32 s7, s13, 0
	s_mov_b64 s[16:17], 1
	s_waitcnt lgkmcnt(0)
	s_add_u32 s14, s0, 8
	s_addc_u32 s15, s1, 0
.LBB0_2:                                ; =>This Inner Loop Header: Depth=1
	s_load_dwordx2 s[18:19], s[14:15], 0x0
                                        ; implicit-def: $vgpr7_vgpr8
	s_mov_b32 s0, exec_lo
	s_waitcnt lgkmcnt(0)
	v_or_b32_e32 v4, s19, v6
	v_cmpx_ne_u64_e32 0, v[3:4]
	s_xor_b32 s1, exec_lo, s0
	s_cbranch_execz .LBB0_4
; %bb.3:                                ;   in Loop: Header=BB0_2 Depth=1
	v_cvt_f32_u32_e32 v4, s18
	v_cvt_f32_u32_e32 v7, s19
	s_sub_u32 s0, 0, s18
	s_subb_u32 s20, 0, s19
	v_fmac_f32_e32 v4, 0x4f800000, v7
	v_rcp_f32_e32 v4, v4
	v_mul_f32_e32 v4, 0x5f7ffffc, v4
	v_mul_f32_e32 v7, 0x2f800000, v4
	v_trunc_f32_e32 v7, v7
	v_fmac_f32_e32 v4, 0xcf800000, v7
	v_cvt_u32_f32_e32 v7, v7
	v_cvt_u32_f32_e32 v4, v4
	v_mul_lo_u32 v8, s0, v7
	v_mul_hi_u32 v9, s0, v4
	v_mul_lo_u32 v10, s20, v4
	v_add_nc_u32_e32 v8, v9, v8
	v_mul_lo_u32 v9, s0, v4
	v_add_nc_u32_e32 v8, v8, v10
	v_mul_hi_u32 v10, v4, v9
	v_mul_lo_u32 v11, v4, v8
	v_mul_hi_u32 v12, v4, v8
	v_mul_hi_u32 v13, v7, v9
	v_mul_lo_u32 v9, v7, v9
	v_mul_hi_u32 v14, v7, v8
	v_mul_lo_u32 v8, v7, v8
	v_add_co_u32 v10, vcc_lo, v10, v11
	v_add_co_ci_u32_e32 v11, vcc_lo, 0, v12, vcc_lo
	v_add_co_u32 v9, vcc_lo, v10, v9
	v_add_co_ci_u32_e32 v9, vcc_lo, v11, v13, vcc_lo
	v_add_co_ci_u32_e32 v10, vcc_lo, 0, v14, vcc_lo
	v_add_co_u32 v8, vcc_lo, v9, v8
	v_add_co_ci_u32_e32 v9, vcc_lo, 0, v10, vcc_lo
	v_add_co_u32 v4, vcc_lo, v4, v8
	v_add_co_ci_u32_e32 v7, vcc_lo, v7, v9, vcc_lo
	v_mul_hi_u32 v8, s0, v4
	v_mul_lo_u32 v10, s20, v4
	v_mul_lo_u32 v9, s0, v7
	v_add_nc_u32_e32 v8, v8, v9
	v_mul_lo_u32 v9, s0, v4
	v_add_nc_u32_e32 v8, v8, v10
	v_mul_hi_u32 v10, v4, v9
	v_mul_lo_u32 v11, v4, v8
	v_mul_hi_u32 v12, v4, v8
	v_mul_hi_u32 v13, v7, v9
	v_mul_lo_u32 v9, v7, v9
	v_mul_hi_u32 v14, v7, v8
	v_mul_lo_u32 v8, v7, v8
	v_add_co_u32 v10, vcc_lo, v10, v11
	v_add_co_ci_u32_e32 v11, vcc_lo, 0, v12, vcc_lo
	v_add_co_u32 v9, vcc_lo, v10, v9
	v_add_co_ci_u32_e32 v9, vcc_lo, v11, v13, vcc_lo
	v_add_co_ci_u32_e32 v10, vcc_lo, 0, v14, vcc_lo
	v_add_co_u32 v8, vcc_lo, v9, v8
	v_add_co_ci_u32_e32 v9, vcc_lo, 0, v10, vcc_lo
	v_add_co_u32 v4, vcc_lo, v4, v8
	v_add_co_ci_u32_e32 v11, vcc_lo, v7, v9, vcc_lo
	v_mul_hi_u32 v13, v5, v4
	v_mad_u64_u32 v[9:10], null, v6, v4, 0
	v_mad_u64_u32 v[7:8], null, v5, v11, 0
	;; [unrolled: 1-line block ×3, first 2 shown]
	v_add_co_u32 v4, vcc_lo, v13, v7
	v_add_co_ci_u32_e32 v7, vcc_lo, 0, v8, vcc_lo
	v_add_co_u32 v4, vcc_lo, v4, v9
	v_add_co_ci_u32_e32 v4, vcc_lo, v7, v10, vcc_lo
	v_add_co_ci_u32_e32 v7, vcc_lo, 0, v12, vcc_lo
	v_add_co_u32 v4, vcc_lo, v4, v11
	v_add_co_ci_u32_e32 v9, vcc_lo, 0, v7, vcc_lo
	v_mul_lo_u32 v10, s19, v4
	v_mad_u64_u32 v[7:8], null, s18, v4, 0
	v_mul_lo_u32 v11, s18, v9
	v_sub_co_u32 v7, vcc_lo, v5, v7
	v_add3_u32 v8, v8, v11, v10
	v_sub_nc_u32_e32 v10, v6, v8
	v_subrev_co_ci_u32_e64 v10, s0, s19, v10, vcc_lo
	v_add_co_u32 v11, s0, v4, 2
	v_add_co_ci_u32_e64 v12, s0, 0, v9, s0
	v_sub_co_u32 v13, s0, v7, s18
	v_sub_co_ci_u32_e32 v8, vcc_lo, v6, v8, vcc_lo
	v_subrev_co_ci_u32_e64 v10, s0, 0, v10, s0
	v_cmp_le_u32_e32 vcc_lo, s18, v13
	v_cmp_eq_u32_e64 s0, s19, v8
	v_cndmask_b32_e64 v13, 0, -1, vcc_lo
	v_cmp_le_u32_e32 vcc_lo, s19, v10
	v_cndmask_b32_e64 v14, 0, -1, vcc_lo
	v_cmp_le_u32_e32 vcc_lo, s18, v7
	;; [unrolled: 2-line block ×3, first 2 shown]
	v_cndmask_b32_e64 v15, 0, -1, vcc_lo
	v_cmp_eq_u32_e32 vcc_lo, s19, v10
	v_cndmask_b32_e64 v7, v15, v7, s0
	v_cndmask_b32_e32 v10, v14, v13, vcc_lo
	v_add_co_u32 v13, vcc_lo, v4, 1
	v_add_co_ci_u32_e32 v14, vcc_lo, 0, v9, vcc_lo
	v_cmp_ne_u32_e32 vcc_lo, 0, v10
	v_cndmask_b32_e32 v8, v14, v12, vcc_lo
	v_cndmask_b32_e32 v10, v13, v11, vcc_lo
	v_cmp_ne_u32_e32 vcc_lo, 0, v7
	v_cndmask_b32_e32 v8, v9, v8, vcc_lo
	v_cndmask_b32_e32 v7, v4, v10, vcc_lo
.LBB0_4:                                ;   in Loop: Header=BB0_2 Depth=1
	s_andn2_saveexec_b32 s0, s1
	s_cbranch_execz .LBB0_6
; %bb.5:                                ;   in Loop: Header=BB0_2 Depth=1
	v_cvt_f32_u32_e32 v4, s18
	s_sub_i32 s1, 0, s18
	v_rcp_iflag_f32_e32 v4, v4
	v_mul_f32_e32 v4, 0x4f7ffffe, v4
	v_cvt_u32_f32_e32 v4, v4
	v_mul_lo_u32 v7, s1, v4
	v_mul_hi_u32 v7, v4, v7
	v_add_nc_u32_e32 v4, v4, v7
	v_mul_hi_u32 v4, v5, v4
	v_mul_lo_u32 v7, v4, s18
	v_add_nc_u32_e32 v8, 1, v4
	v_sub_nc_u32_e32 v7, v5, v7
	v_subrev_nc_u32_e32 v9, s18, v7
	v_cmp_le_u32_e32 vcc_lo, s18, v7
	v_cndmask_b32_e32 v7, v7, v9, vcc_lo
	v_cndmask_b32_e32 v4, v4, v8, vcc_lo
	v_cmp_le_u32_e32 vcc_lo, s18, v7
	v_add_nc_u32_e32 v8, 1, v4
	v_cndmask_b32_e32 v7, v4, v8, vcc_lo
	v_mov_b32_e32 v8, v3
.LBB0_6:                                ;   in Loop: Header=BB0_2 Depth=1
	s_or_b32 exec_lo, exec_lo, s0
	s_load_dwordx2 s[0:1], s[6:7], 0x0
	v_mul_lo_u32 v4, v8, s18
	v_mul_lo_u32 v11, v7, s19
	v_mad_u64_u32 v[9:10], null, v7, s18, 0
	s_add_u32 s16, s16, 1
	s_addc_u32 s17, s17, 0
	s_add_u32 s6, s6, 8
	s_addc_u32 s7, s7, 0
	;; [unrolled: 2-line block ×3, first 2 shown]
	v_add3_u32 v4, v10, v11, v4
	v_sub_co_u32 v5, vcc_lo, v5, v9
	v_sub_co_ci_u32_e32 v4, vcc_lo, v6, v4, vcc_lo
	s_waitcnt lgkmcnt(0)
	v_mul_lo_u32 v6, s1, v5
	v_mul_lo_u32 v4, s0, v4
	v_mad_u64_u32 v[1:2], null, s0, v5, v[1:2]
	v_cmp_ge_u64_e64 s0, s[16:17], s[10:11]
	s_and_b32 vcc_lo, exec_lo, s0
	v_add3_u32 v2, v6, v2, v4
	s_cbranch_vccnz .LBB0_9
; %bb.7:                                ;   in Loop: Header=BB0_2 Depth=1
	v_mov_b32_e32 v5, v7
	v_mov_b32_e32 v6, v8
	s_branch .LBB0_2
.LBB0_8:
	v_mov_b32_e32 v8, v6
	v_mov_b32_e32 v7, v5
.LBB0_9:
	s_lshl_b64 s[0:1], s[10:11], 3
	v_mul_hi_u32 v3, 0x4924925, v0
	s_add_u32 s0, s12, s0
	s_addc_u32 s1, s13, s1
	s_load_dwordx2 s[0:1], s[0:1], 0x0
	s_load_dwordx2 s[4:5], s[4:5], 0x20
	v_mul_u32_u24_e32 v3, 56, v3
	v_sub_nc_u32_e32 v0, v0, v3
	s_waitcnt lgkmcnt(0)
	v_mul_lo_u32 v4, s0, v8
	v_mul_lo_u32 v5, s1, v7
	v_mad_u64_u32 v[1:2], null, s0, v7, v[1:2]
	v_cmp_gt_u64_e32 vcc_lo, s[4:5], v[7:8]
	v_cmp_le_u64_e64 s0, s[4:5], v[7:8]
                                        ; implicit-def: $sgpr4
	v_add3_u32 v2, v5, v2, v4
	v_or_b32_e32 v4, 0x1c0, v0
	s_and_saveexec_b32 s1, s0
	s_xor_b32 s0, exec_lo, s1
; %bb.10:
	v_or_b32_e32 v4, 0x1c0, v0
	s_mov_b32 s4, 0
; %bb.11:
	s_or_saveexec_b32 s1, s0
	v_lshlrev_b64 v[2:3], 2, v[1:2]
	v_mov_b32_e32 v10, s4
	v_mov_b32_e32 v21, s4
	;; [unrolled: 1-line block ×9, first 2 shown]
                                        ; implicit-def: $vgpr28
                                        ; implicit-def: $vgpr25
                                        ; implicit-def: $vgpr30
                                        ; implicit-def: $vgpr23
                                        ; implicit-def: $vgpr29
                                        ; implicit-def: $vgpr22
                                        ; implicit-def: $vgpr27
                                        ; implicit-def: $vgpr18
                                        ; implicit-def: $vgpr26
                                        ; implicit-def: $vgpr15
                                        ; implicit-def: $vgpr24
                                        ; implicit-def: $vgpr13
                                        ; implicit-def: $vgpr20
                                        ; implicit-def: $vgpr11
                                        ; implicit-def: $vgpr16
                                        ; implicit-def: $vgpr7
                                        ; implicit-def: $vgpr17
                                        ; implicit-def: $vgpr8
	s_xor_b32 exec_lo, exec_lo, s1
	s_cbranch_execz .LBB0_13
; %bb.12:
	v_mov_b32_e32 v1, 0
	v_add_co_u32 v10, s0, s2, v2
	v_add_co_ci_u32_e64 v11, s0, s3, v3, s0
	v_lshlrev_b64 v[5:6], 2, v[0:1]
	v_or_b32_e32 v7, 0x380, v0
	v_mov_b32_e32 v8, v1
	v_add_co_u32 v16, s0, v10, v5
	v_add_co_ci_u32_e64 v17, s0, v11, v6, s0
	v_lshlrev_b64 v[5:6], 2, v[7:8]
	v_add_co_u32 v8, s0, 0x800, v16
	v_add_co_ci_u32_e64 v9, s0, 0, v17, s0
	v_add_co_u32 v5, s0, v10, v5
	v_add_co_ci_u32_e64 v6, s0, v11, v6, s0
	s_clause 0x11
	global_load_dword v25, v[16:17], off offset:2016
	global_load_dword v23, v[8:9], off offset:192
	;; [unrolled: 1-line block ×7, first 2 shown]
	global_load_dword v7, v[5:6], off
	global_load_dword v8, v[8:9], off offset:1760
	global_load_dword v10, v[16:17], off
	global_load_dword v21, v[16:17], off offset:224
	global_load_dword v19, v[16:17], off offset:448
	;; [unrolled: 1-line block ×8, first 2 shown]
	s_waitcnt vmcnt(17)
	v_lshrrev_b32_e32 v28, 16, v25
	s_waitcnt vmcnt(16)
	v_lshrrev_b32_e32 v30, 16, v23
	;; [unrolled: 2-line block ×9, first 2 shown]
.LBB0_13:
	s_or_b32 exec_lo, exec_lo, s1
	s_waitcnt vmcnt(8)
	v_sub_f16_e32 v25, v10, v25
	s_waitcnt vmcnt(7)
	v_sub_f16_e32 v23, v21, v23
	;; [unrolled: 2-line block ×3, first 2 shown]
	v_lshrrev_b32_e32 v31, 16, v10
	v_lshrrev_b32_e32 v32, 16, v21
	v_sub_f16_e32 v22, v19, v22
	v_fma_f16 v10, v10, 2.0, -v25
	v_fma_f16 v21, v21, 2.0, -v23
	v_sub_f16_e32 v38, v6, v11
	v_lshrrev_b32_e32 v11, 16, v1
	v_fma_f16 v41, v1, 2.0, -v7
	v_add_nc_u32_e32 v1, 56, v0
	v_lshrrev_b32_e32 v33, 16, v19
	v_fma_f16 v19, v19, 2.0, -v22
	v_sub_f16_e32 v18, v14, v18
	v_sub_f16_e32 v15, v12, v15
	;; [unrolled: 1-line block ×3, first 2 shown]
	s_waitcnt vmcnt(0)
	v_sub_f16_e32 v40, v5, v8
	v_lshl_add_u32 v44, v0, 2, 0
	v_pack_b32_f16 v10, v10, v25
	v_lshl_add_u32 v25, v1, 2, 0
	v_pack_b32_f16 v21, v21, v23
	v_add_nc_u32_e32 v8, 0x70, v0
	v_lshrrev_b32_e32 v34, 16, v14
	v_lshrrev_b32_e32 v35, 16, v12
	v_fma_f16 v14, v14, 2.0, -v18
	v_fma_f16 v12, v12, 2.0, -v15
	v_sub_f16_e32 v13, v9, v13
	v_lshrrev_b32_e32 v37, 16, v6
	v_fma_f16 v39, v6, 2.0, -v38
	v_lshrrev_b32_e32 v6, 16, v5
	v_fma_f16 v42, v11, 2.0, -v16
	ds_write_b32 v44, v10
	v_add_nc_u32_e32 v11, 0xa8, v0
	ds_write_b32 v25, v21
	v_add_nc_u32_e32 v10, 0xe0, v0
	v_lshl_add_u32 v21, v8, 2, 0
	v_pack_b32_f16 v19, v19, v22
	v_sub_f16_e32 v28, v31, v28
	v_lshrrev_b32_e32 v36, 16, v9
	v_fma_f16 v9, v9, 2.0, -v13
	v_sub_f16_e32 v17, v6, v17
	v_lshl_add_u32 v22, v11, 2, 0
	v_pack_b32_f16 v14, v14, v18
	v_lshl_add_u32 v18, v10, 2, 0
	v_pack_b32_f16 v15, v12, v15
	ds_write_b32 v21, v19
	v_add_nc_u32_e32 v12, 0x118, v0
	v_add_nc_u32_e32 v19, 0x150, v0
	v_sub_f16_e32 v30, v32, v30
	v_add_nc_u32_e32 v23, 0x188, v0
	v_sub_f16_e32 v29, v33, v29
	v_sub_f16_e32 v27, v34, v27
	;; [unrolled: 1-line block ×3, first 2 shown]
	v_fma_f16 v31, v31, 2.0, -v28
	v_sub_f16_e32 v24, v36, v24
	v_sub_f16_e32 v20, v37, v20
	v_fma_f16 v5, v5, 2.0, -v40
	v_fma_f16 v43, v6, 2.0, -v17
	v_lshlrev_b32_e32 v6, 1, v0
	ds_write_b32 v22, v14
	ds_write_b32 v18, v15
	v_lshl_add_u32 v14, v12, 2, 0
	v_pack_b32_f16 v9, v9, v13
	v_lshl_add_u32 v13, v19, 2, 0
	v_pack_b32_f16 v15, v39, v38
	v_fma_f16 v32, v32, 2.0, -v30
	v_lshl_add_u32 v38, v23, 2, 0
	v_pack_b32_f16 v7, v41, v7
	v_fma_f16 v33, v33, 2.0, -v29
	v_fma_f16 v34, v34, 2.0, -v27
	;; [unrolled: 1-line block ×5, first 2 shown]
	ds_write_b32 v14, v9
	v_lshl_add_u32 v39, v4, 2, 0
	v_pack_b32_f16 v40, v5, v40
	ds_write_b32 v13, v15
	ds_write_b32 v38, v7
	v_lshlrev_b32_e32 v5, 1, v4
	v_add_nc_u32_e32 v9, 0, v6
	v_pack_b32_f16 v7, v31, v28
	v_pack_b32_f16 v15, v32, v30
	;; [unrolled: 1-line block ×5, first 2 shown]
	ds_write_b32 v39, v40
	s_waitcnt lgkmcnt(0)
	s_barrier
	buffer_gl0_inv
	ds_read_u16 v40, v9
	ds_read_u16 v41, v9 offset:112
	ds_read_u16 v45, v9 offset:224
	ds_read_u16 v46, v9 offset:336
	ds_read_u16 v47, v9 offset:448
	ds_read_u16 v48, v9 offset:560
	ds_read_u16 v49, v9 offset:672
	ds_read_u16 v50, v9 offset:784
	v_sub_nc_u32_e32 v4, v39, v5
	ds_read_u16 v51, v9 offset:1008
	ds_read_u16 v52, v9 offset:1120
	;; [unrolled: 1-line block ×8, first 2 shown]
	ds_read_u16 v59, v4
	ds_read_u16 v60, v9 offset:1904
	s_waitcnt lgkmcnt(0)
	s_barrier
	buffer_gl0_inv
	ds_write_b32 v44, v7
	ds_write_b32 v25, v15
	;; [unrolled: 1-line block ×5, first 2 shown]
	v_pack_b32_f16 v7, v36, v24
	v_pack_b32_f16 v15, v37, v20
	v_and_b32_e32 v20, 1, v0
	v_pack_b32_f16 v16, v42, v16
	v_pack_b32_f16 v17, v43, v17
	ds_write_b32 v14, v7
	ds_write_b32 v13, v15
	ds_write_b32 v38, v16
	v_lshlrev_b32_e32 v7, 2, v20
	v_lshlrev_b32_e32 v13, 1, v8
	ds_write_b32 v39, v17
	s_waitcnt lgkmcnt(0)
	s_barrier
	buffer_gl0_inv
	global_load_dword v21, v7, s[8:9]
	ds_read_u16 v31, v9 offset:1008
	ds_read_u16 v32, v9 offset:1120
	;; [unrolled: 1-line block ×8, first 2 shown]
	ds_read_u16 v39, v4
	ds_read_u16 v42, v9 offset:1904
	ds_read_u16 v43, v9
	ds_read_u16 v44, v9 offset:112
	ds_read_u16 v61, v9 offset:224
	;; [unrolled: 1-line block ×7, first 2 shown]
	v_lshlrev_b32_e32 v17, 1, v19
	v_and_or_b32 v19, 0x7c, v6, v20
	v_lshlrev_b32_e32 v7, 1, v1
	v_and_b32_e32 v24, 3, v0
	v_lshlrev_b32_e32 v14, 1, v11
	v_lshlrev_b32_e32 v15, 1, v10
	;; [unrolled: 1-line block ×4, first 2 shown]
	v_lshl_add_u32 v19, v19, 1, 0
	v_and_or_b32 v25, 0xfc, v7, v20
	v_and_or_b32 v26, 0x1fc, v13, v20
	;; [unrolled: 1-line block ×3, first 2 shown]
	v_lshlrev_b32_e32 v23, 2, v24
	v_and_or_b32 v27, 0x1fc, v14, v20
	v_and_or_b32 v28, 0x3fc, v15, v20
	;; [unrolled: 1-line block ×5, first 2 shown]
	s_waitcnt vmcnt(0) lgkmcnt(0)
	s_barrier
	buffer_gl0_inv
	v_lshl_add_u32 v25, v25, 1, 0
	v_lshl_add_u32 v26, v26, 1, 0
	;; [unrolled: 1-line block ×8, first 2 shown]
	v_cmp_gt_u32_e64 s0, 48, v0
	v_mul_f16_sdwa v67, v31, v21 dst_sel:DWORD dst_unused:UNUSED_PAD src0_sel:DWORD src1_sel:WORD_1
	v_mul_f16_sdwa v68, v51, v21 dst_sel:DWORD dst_unused:UNUSED_PAD src0_sel:DWORD src1_sel:WORD_1
	v_mul_f16_sdwa v69, v32, v21 dst_sel:DWORD dst_unused:UNUSED_PAD src0_sel:DWORD src1_sel:WORD_1
	v_mul_f16_sdwa v70, v52, v21 dst_sel:DWORD dst_unused:UNUSED_PAD src0_sel:DWORD src1_sel:WORD_1
	v_mul_f16_sdwa v71, v33, v21 dst_sel:DWORD dst_unused:UNUSED_PAD src0_sel:DWORD src1_sel:WORD_1
	v_mul_f16_sdwa v72, v53, v21 dst_sel:DWORD dst_unused:UNUSED_PAD src0_sel:DWORD src1_sel:WORD_1
	v_mul_f16_sdwa v73, v34, v21 dst_sel:DWORD dst_unused:UNUSED_PAD src0_sel:DWORD src1_sel:WORD_1
	v_mul_f16_sdwa v75, v35, v21 dst_sel:DWORD dst_unused:UNUSED_PAD src0_sel:DWORD src1_sel:WORD_1
	v_mul_f16_sdwa v77, v36, v21 dst_sel:DWORD dst_unused:UNUSED_PAD src0_sel:DWORD src1_sel:WORD_1
	v_mul_f16_sdwa v79, v37, v21 dst_sel:DWORD dst_unused:UNUSED_PAD src0_sel:DWORD src1_sel:WORD_1
	v_mul_f16_sdwa v81, v38, v21 dst_sel:DWORD dst_unused:UNUSED_PAD src0_sel:DWORD src1_sel:WORD_1
	v_mul_f16_sdwa v83, v42, v21 dst_sel:DWORD dst_unused:UNUSED_PAD src0_sel:DWORD src1_sel:WORD_1
	v_mul_f16_sdwa v74, v54, v21 dst_sel:DWORD dst_unused:UNUSED_PAD src0_sel:DWORD src1_sel:WORD_1
	v_mul_f16_sdwa v76, v55, v21 dst_sel:DWORD dst_unused:UNUSED_PAD src0_sel:DWORD src1_sel:WORD_1
	v_mul_f16_sdwa v78, v56, v21 dst_sel:DWORD dst_unused:UNUSED_PAD src0_sel:DWORD src1_sel:WORD_1
	v_mul_f16_sdwa v80, v57, v21 dst_sel:DWORD dst_unused:UNUSED_PAD src0_sel:DWORD src1_sel:WORD_1
	v_mul_f16_sdwa v82, v58, v21 dst_sel:DWORD dst_unused:UNUSED_PAD src0_sel:DWORD src1_sel:WORD_1
	v_mul_f16_sdwa v84, v60, v21 dst_sel:DWORD dst_unused:UNUSED_PAD src0_sel:DWORD src1_sel:WORD_1
	v_fmac_f16_e32 v67, v51, v21
	v_fma_f16 v31, v31, v21, -v68
	v_fmac_f16_e32 v69, v52, v21
	v_fma_f16 v32, v32, v21, -v70
	;; [unrolled: 2-line block ×3, first 2 shown]
	v_fmac_f16_e32 v73, v54, v21
	v_fmac_f16_e32 v75, v55, v21
	;; [unrolled: 1-line block ×6, first 2 shown]
	v_fma_f16 v34, v34, v21, -v74
	v_fma_f16 v35, v35, v21, -v76
	;; [unrolled: 1-line block ×6, first 2 shown]
	v_sub_f16_e32 v42, v40, v67
	v_sub_f16_e32 v31, v43, v31
	;; [unrolled: 1-line block ×18, first 2 shown]
	v_fma_f16 v40, v40, 2.0, -v42
	ds_write_b16 v19, v42 offset:4
	v_fma_f16 v42, v43, 2.0, -v31
	v_fma_f16 v41, v41, 2.0, -v51
	;; [unrolled: 1-line block ×17, first 2 shown]
	ds_write_b16 v19, v40
	ds_write_b16 v25, v41
	ds_write_b16 v25, v51 offset:4
	ds_write_b16 v26, v43
	ds_write_b16 v26, v52 offset:4
	;; [unrolled: 2-line block ×8, first 2 shown]
	s_waitcnt lgkmcnt(0)
	s_barrier
	buffer_gl0_inv
	ds_read_u16 v40, v9
	ds_read_u16 v41, v9 offset:112
	ds_read_u16 v43, v9 offset:224
	;; [unrolled: 1-line block ×15, first 2 shown]
	ds_read_u16 v58, v4
	ds_read_u16 v65, v9 offset:1904
	s_waitcnt lgkmcnt(0)
	s_barrier
	buffer_gl0_inv
	ds_write_b16 v19, v42
	ds_write_b16 v19, v31 offset:4
	ds_write_b16 v25, v44
	ds_write_b16 v25, v32 offset:4
	;; [unrolled: 2-line block ×9, first 2 shown]
	s_waitcnt lgkmcnt(0)
	s_barrier
	buffer_gl0_inv
	global_load_dword v19, v23, s[8:9] offset:8
	v_and_or_b32 v20, 0x78, v6, v24
	v_and_or_b32 v21, 0x3f8, v5, v24
	;; [unrolled: 1-line block ×9, first 2 shown]
	v_lshl_add_u32 v33, v23, 1, 0
	v_lshl_add_u32 v34, v25, 1, 0
	;; [unrolled: 1-line block ×7, first 2 shown]
	ds_read_u16 v23, v9 offset:1008
	ds_read_u16 v24, v9 offset:1120
	;; [unrolled: 1-line block ×8, first 2 shown]
	ds_read_u16 v31, v4
	ds_read_u16 v42, v9 offset:1904
	ds_read_u16 v44, v9
	ds_read_u16 v59, v9 offset:112
	ds_read_u16 v60, v9 offset:224
	;; [unrolled: 1-line block ×7, first 2 shown]
	v_and_b32_e32 v22, 7, v0
	v_lshl_add_u32 v20, v20, 1, 0
	s_waitcnt vmcnt(0) lgkmcnt(0)
	s_barrier
	buffer_gl0_inv
	v_lshlrev_b32_e32 v32, 2, v22
	v_lshl_add_u32 v21, v21, 1, 0
	v_and_or_b32 v13, 0x1f0, v13, v22
	v_and_or_b32 v14, 0x1f0, v14, v22
	;; [unrolled: 1-line block ×9, first 2 shown]
	v_lshl_add_u32 v6, v6, 1, 0
	v_lshl_add_u32 v5, v5, 1, 0
	;; [unrolled: 1-line block ×3, first 2 shown]
	v_mul_f16_sdwa v67, v23, v19 dst_sel:DWORD dst_unused:UNUSED_PAD src0_sel:DWORD src1_sel:WORD_1
	v_mul_f16_sdwa v68, v50, v19 dst_sel:DWORD dst_unused:UNUSED_PAD src0_sel:DWORD src1_sel:WORD_1
	;; [unrolled: 1-line block ×18, first 2 shown]
	v_fmac_f16_e32 v67, v50, v19
	v_fma_f16 v23, v23, v19, -v68
	v_fmac_f16_e32 v69, v51, v19
	v_fma_f16 v24, v24, v19, -v70
	;; [unrolled: 2-line block ×3, first 2 shown]
	v_fmac_f16_e32 v73, v53, v19
	v_fmac_f16_e32 v75, v54, v19
	;; [unrolled: 1-line block ×6, first 2 shown]
	v_fma_f16 v26, v26, v19, -v74
	v_fma_f16 v27, v27, v19, -v76
	;; [unrolled: 1-line block ×6, first 2 shown]
	v_sub_f16_e32 v42, v40, v67
	v_sub_f16_e32 v51, v44, v23
	;; [unrolled: 1-line block ×18, first 2 shown]
	v_fma_f16 v24, v40, 2.0, -v42
	v_fma_f16 v40, v44, 2.0, -v51
	;; [unrolled: 1-line block ×5, first 2 shown]
	ds_write_b16 v20, v42 offset:8
	v_fma_f16 v27, v45, 2.0, -v52
	v_fma_f16 v28, v46, 2.0, -v53
	;; [unrolled: 1-line block ×13, first 2 shown]
	ds_write_b16 v20, v24
	ds_write_b16 v33, v25
	ds_write_b16 v33, v50 offset:8
	ds_write_b16 v34, v26
	ds_write_b16 v34, v23 offset:8
	;; [unrolled: 2-line block ×8, first 2 shown]
	s_waitcnt lgkmcnt(0)
	s_barrier
	buffer_gl0_inv
	ds_read_u16 v30, v9
	ds_read_u16 v29, v9 offset:112
	ds_read_u16 v28, v9 offset:224
	ds_read_u16 v27, v9 offset:336
	ds_read_u16 v26, v9 offset:448
	ds_read_u16 v25, v9 offset:560
	ds_read_u16 v24, v9 offset:672
	ds_read_u16 v23, v9 offset:784
	ds_read_u16 v41, v9 offset:1008
	ds_read_u16 v42, v9 offset:1120
	ds_read_u16 v50, v9 offset:1232
	ds_read_u16 v52, v9 offset:1344
	ds_read_u16 v53, v9 offset:1456
	ds_read_u16 v54, v9 offset:1568
	ds_read_u16 v55, v9 offset:1680
	ds_read_u16 v56, v9 offset:1792
	ds_read_u16 v31, v4
	ds_read_u16 v57, v9 offset:1904
	s_waitcnt lgkmcnt(0)
	s_barrier
	buffer_gl0_inv
	ds_write_b16 v20, v40
	ds_write_b16 v20, v51 offset:8
	ds_write_b16 v33, v43
	ds_write_b16 v33, v65 offset:8
	;; [unrolled: 2-line block ×9, first 2 shown]
	s_waitcnt lgkmcnt(0)
	s_barrier
	buffer_gl0_inv
	global_load_dword v32, v32, s[8:9] offset:24
	v_lshl_add_u32 v34, v13, 1, 0
	v_lshl_add_u32 v35, v14, 1, 0
	;; [unrolled: 1-line block ×6, first 2 shown]
	ds_read_u16 v13, v9 offset:1008
	ds_read_u16 v14, v9 offset:1120
	;; [unrolled: 1-line block ×8, first 2 shown]
	ds_read_u16 v4, v4
	ds_read_u16 v43, v9 offset:1904
	ds_read_u16 v45, v9
	ds_read_u16 v46, v9 offset:112
	ds_read_u16 v47, v9 offset:224
	;; [unrolled: 1-line block ×7, first 2 shown]
	v_and_b32_e32 v20, 15, v12
	v_and_b32_e32 v21, 15, v11
	;; [unrolled: 1-line block ×3, first 2 shown]
	s_waitcnt vmcnt(0) lgkmcnt(0)
	s_barrier
	v_lshlrev_b32_e32 v37, 3, v20
	buffer_gl0_inv
	v_lshlrev_b32_e32 v44, 3, v21
	v_mul_f16_sdwa v61, v41, v32 dst_sel:DWORD dst_unused:UNUSED_PAD src0_sel:DWORD src1_sel:WORD_1
	v_mul_f16_sdwa v60, v13, v32 dst_sel:DWORD dst_unused:UNUSED_PAD src0_sel:DWORD src1_sel:WORD_1
	;; [unrolled: 1-line block ×18, first 2 shown]
	v_fma_f16 v13, v13, v32, -v61
	v_fmac_f16_e32 v60, v41, v32
	v_fmac_f16_e32 v62, v42, v32
	v_fma_f16 v14, v14, v32, -v63
	v_fmac_f16_e32 v64, v50, v32
	v_fma_f16 v15, v15, v32, -v65
	;; [unrolled: 2-line block ×8, first 2 shown]
	v_sub_f16_e32 v42, v45, v13
	v_sub_f16_e32 v41, v30, v60
	;; [unrolled: 1-line block ×18, first 2 shown]
	v_fma_f16 v45, v45, 2.0, -v42
	v_fma_f16 v30, v30, 2.0, -v41
	;; [unrolled: 1-line block ×18, first 2 shown]
	ds_write_b16 v6, v41 offset:16
	ds_write_b16 v6, v30
	ds_write_b16 v7, v29
	ds_write_b16 v7, v13 offset:16
	ds_write_b16 v34, v28
	ds_write_b16 v34, v14 offset:16
	;; [unrolled: 2-line block ×8, first 2 shown]
	s_waitcnt lgkmcnt(0)
	s_barrier
	buffer_gl0_inv
	ds_read_u16 v23, v9 offset:1568
	ds_read_u16 v22, v9 offset:1680
	ds_read_u16 v18, v9
	ds_read_u16 v17, v9 offset:112
	ds_read_u16 v16, v9 offset:224
	;; [unrolled: 1-line block ×15, first 2 shown]
	s_waitcnt lgkmcnt(0)
	s_barrier
	buffer_gl0_inv
	ds_write_b16 v6, v45
	ds_write_b16 v6, v42 offset:16
	ds_write_b16 v7, v46
	ds_write_b16 v7, v43 offset:16
	;; [unrolled: 2-line block ×9, first 2 shown]
	v_and_b32_e32 v43, 15, v1
	s_waitcnt lgkmcnt(0)
	s_barrier
	buffer_gl0_inv
	global_load_dword v34, v37, s[8:9] offset:56
	v_lshlrev_b32_e32 v4, 3, v19
	s_clause 0x3
	global_load_dword v36, v37, s[8:9] offset:58
	global_load_dword v35, v37, s[8:9] offset:60
	global_load_ushort v38, v44, s[8:9] offset:58
	global_load_dwordx2 v[4:5], v4, s[8:9] offset:56
	v_lshlrev_b32_e32 v6, 3, v43
	s_clause 0x4
	global_load_ushort v40, v37, s[8:9] offset:62
	global_load_ushort v42, v6, s[8:9] offset:56
	;; [unrolled: 1-line block ×5, first 2 shown]
	v_subrev_nc_u32_e32 v6, 48, v0
	v_lshrrev_b32_e32 v44, 4, v0
	v_mov_b32_e32 v45, 0xaaab
	v_lshrrev_b32_e32 v47, 4, v1
	v_lshrrev_b32_e32 v48, 4, v11
	v_cndmask_b32_e64 v6, v6, v0, s0
	v_lshrrev_b32_e32 v49, 4, v8
	v_and_b32_e32 v52, 0xff, v1
	v_and_b32_e32 v53, 0xff, v8
	v_mov_b32_e32 v7, 0
	v_mul_u32_u24_e32 v44, 48, v44
	v_lshrrev_b32_e32 v50, 4, v10
	v_lshrrev_b32_e32 v51, 4, v12
	v_and_b32_e32 v54, 0xff, v11
	v_mul_u32_u24_sdwa v55, v10, v45 dst_sel:DWORD dst_unused:UNUSED_PAD src0_sel:WORD_0 src1_sel:DWORD
	v_mul_u32_u24_sdwa v45, v12, v45 dst_sel:DWORD dst_unused:UNUSED_PAD src0_sel:WORD_0 src1_sel:DWORD
	v_lshlrev_b32_e32 v6, 1, v6
	v_mul_u32_u24_e32 v47, 48, v47
	v_mul_u32_u24_e32 v48, 48, v48
	;; [unrolled: 1-line block ×3, first 2 shown]
	v_mul_lo_u16 v52, 0xab, v52
	v_mul_lo_u16 v53, 0xab, v53
	v_mul_u32_u24_e32 v50, 48, v50
	v_or_b32_e32 v56, v44, v19
	v_mul_u32_u24_e32 v51, 48, v51
	v_mul_lo_u16 v54, 0xab, v54
	v_lshrrev_b32_e32 v57, 21, v45
	v_lshlrev_b64 v[44:45], 2, v[6:7]
	v_or_b32_e32 v7, v47, v43
	v_or_b32_e32 v21, v48, v21
	;; [unrolled: 1-line block ×3, first 2 shown]
	v_lshrrev_b16 v48, 13, v52
	v_lshrrev_b16 v49, 13, v53
	v_or_b32_e32 v19, v50, v19
	v_or_b32_e32 v20, v51, v20
	v_lshrrev_b16 v50, 13, v54
	v_lshl_add_u32 v51, v7, 1, 0
	v_mul_lo_u16 v7, v48, 48
	v_mul_lo_u16 v54, v49, 48
	v_lshl_add_u32 v52, v19, 1, 0
	v_add_co_u32 v19, s0, s8, v44
	v_sub_nc_u16 v58, v1, v7
	v_sub_nc_u16 v44, v8, v54
	ds_read_u16 v7, v9 offset:784
	ds_read_u16 v54, v9 offset:672
	;; [unrolled: 1-line block ×12, first 2 shown]
	ds_read_u16 v69, v9
	ds_read_u16 v70, v9 offset:112
	ds_read_u16 v71, v9 offset:224
	;; [unrolled: 1-line block ×5, first 2 shown]
	v_lshrrev_b32_e32 v55, 21, v55
	v_lshl_add_u32 v47, v56, 1, 0
	v_mul_lo_u16 v56, v50, 48
	v_lshl_add_u32 v43, v43, 1, 0
	v_lshl_add_u32 v21, v21, 1, 0
	;; [unrolled: 1-line block ×3, first 2 shown]
	s_waitcnt vmcnt(0) lgkmcnt(0)
	s_barrier
	buffer_gl0_inv
	v_mov_b32_e32 v46, 3
	v_add_co_ci_u32_e64 v20, s0, s9, v45, s0
	v_cmp_lt_u32_e64 s0, 47, v0
	v_lshlrev_b32_sdwa v45, v46, v58 dst_sel:DWORD dst_unused:UNUSED_PAD src0_sel:DWORD src1_sel:BYTE_0
	v_mul_f16_sdwa v75, v7, v34 dst_sel:DWORD dst_unused:UNUSED_PAD src0_sel:DWORD src1_sel:WORD_1
	v_mul_f16_sdwa v76, v33, v34 dst_sel:DWORD dst_unused:UNUSED_PAD src0_sel:DWORD src1_sel:WORD_1
	v_lshrrev_b32_e32 v77, 16, v36
	v_mul_f16_sdwa v78, v59, v35 dst_sel:DWORD dst_unused:UNUSED_PAD src0_sel:DWORD src1_sel:WORD_1
	v_mul_f16_sdwa v81, v54, v4 dst_sel:DWORD dst_unused:UNUSED_PAD src0_sel:DWORD src1_sel:WORD_1
	v_mul_f16_sdwa v82, v30, v4 dst_sel:DWORD dst_unused:UNUSED_PAD src0_sel:DWORD src1_sel:WORD_1
	v_mul_f16_sdwa v83, v64, v5 dst_sel:DWORD dst_unused:UNUSED_PAD src0_sel:DWORD src1_sel:WORD_1
	v_mul_f16_sdwa v84, v31, v5 dst_sel:DWORD dst_unused:UNUSED_PAD src0_sel:DWORD src1_sel:WORD_1
	v_mul_f16_sdwa v79, v32, v35 dst_sel:DWORD dst_unused:UNUSED_PAD src0_sel:DWORD src1_sel:WORD_1
	v_mul_f16_e32 v80, v62, v38
	v_mul_f16_sdwa v85, v66, v4 dst_sel:DWORD dst_unused:UNUSED_PAD src0_sel:DWORD src1_sel:WORD_1
	v_mul_f16_sdwa v86, v27, v4 dst_sel:DWORD dst_unused:UNUSED_PAD src0_sel:DWORD src1_sel:WORD_1
	;; [unrolled: 1-line block ×7, first 2 shown]
	v_fmac_f16_e32 v75, v33, v42
	v_mul_f16_sdwa v33, v28, v5 dst_sel:DWORD dst_unused:UNUSED_PAD src0_sel:DWORD src1_sel:WORD_1
	v_fma_f16 v7, v7, v42, -v76
	v_mul_f16_e32 v42, v61, v41
	v_mul_f16_e32 v38, v29, v38
	;; [unrolled: 1-line block ×5, first 2 shown]
	v_fmac_f16_e32 v78, v32, v77
	v_mul_f16_e32 v32, v68, v40
	v_mul_f16_e32 v40, v26, v40
	v_fmac_f16_e32 v81, v30, v4
	v_fma_f16 v30, v54, v4, -v82
	v_fmac_f16_e32 v83, v31, v5
	v_fma_f16 v31, v64, v5, -v84
	v_fma_f16 v59, v59, v77, -v79
	v_fmac_f16_e32 v80, v29, v39
	v_fmac_f16_e32 v85, v27, v4
	v_fma_f16 v27, v66, v4, -v86
	v_fmac_f16_e32 v87, v23, v5
	v_fma_f16 v23, v60, v5, -v88
	;; [unrolled: 2-line block ×5, first 2 shown]
	v_fma_f16 v22, v61, v37, -v41
	v_fmac_f16_e32 v76, v25, v34
	v_fma_f16 v24, v65, v34, -v36
	v_fmac_f16_e32 v32, v26, v35
	v_fma_f16 v25, v68, v35, -v40
	v_add_f16_e32 v28, v81, v83
	v_add_f16_e32 v33, v69, v30
	v_sub_f16_e32 v35, v30, v31
	v_add_f16_e32 v30, v30, v31
	v_add_f16_e32 v36, v17, v75
	v_add_f16_e32 v37, v75, v78
	v_add_f16_e32 v38, v70, v7
	v_sub_f16_e32 v39, v75, v78
	v_sub_f16_e32 v40, v7, v59
	v_add_f16_e32 v7, v7, v59
	v_add_f16_e32 v54, v85, v87
	;; [unrolled: 1-line block ×4, first 2 shown]
	v_sub_f16_e32 v66, v80, v42
	v_add_f16_e32 v75, v89, v91
	v_add_f16_e32 v80, v4, v5
	;; [unrolled: 1-line block ×5, first 2 shown]
	v_sub_f16_e32 v61, v85, v87
	v_sub_f16_e32 v62, v27, v23
	v_add_f16_e32 v27, v27, v23
	v_add_f16_e32 v65, v72, v29
	v_sub_f16_e32 v67, v29, v22
	v_add_f16_e32 v29, v29, v22
	v_add_f16_e32 v82, v76, v32
	;; [unrolled: 1-line block ×3, first 2 shown]
	v_sub_f16_e32 v34, v81, v83
	v_fmac_f16_e32 v18, -0.5, v28
	v_fmac_f16_e32 v69, -0.5, v30
	v_add_f16_e32 v68, v13, v89
	v_add_f16_e32 v77, v74, v4
	v_sub_f16_e32 v79, v89, v91
	v_sub_f16_e32 v4, v4, v5
	v_add_f16_e32 v81, v15, v76
	v_fmac_f16_e32 v17, -0.5, v37
	v_fmac_f16_e32 v70, -0.5, v7
	;; [unrolled: 1-line block ×5, first 2 shown]
	v_sub_f16_e32 v76, v76, v32
	v_add_f16_e32 v84, v73, v24
	v_sub_f16_e32 v24, v24, v25
	v_add_f16_e32 v26, v26, v83
	v_add_f16_e32 v28, v33, v31
	v_fmac_f16_e32 v71, -0.5, v27
	v_fmac_f16_e32 v14, -0.5, v64
	;; [unrolled: 1-line block ×5, first 2 shown]
	v_fmamk_f16 v33, v35, 0xbaee, v18
	v_fmac_f16_e32 v18, 0x3aee, v35
	v_fmamk_f16 v35, v34, 0x3aee, v69
	v_fmac_f16_e32 v69, 0xbaee, v34
	v_add_f16_e32 v30, v36, v78
	v_add_f16_e32 v31, v38, v59
	;; [unrolled: 1-line block ×4, first 2 shown]
	v_fmamk_f16 v34, v40, 0xbaee, v17
	v_fmamk_f16 v36, v39, 0x3aee, v70
	;; [unrolled: 1-line block ×3, first 2 shown]
	v_fmac_f16_e32 v16, 0x3aee, v62
	v_fmamk_f16 v41, v4, 0xbaee, v13
	v_fmac_f16_e32 v13, 0x3aee, v4
	v_fmamk_f16 v4, v79, 0x3aee, v74
	v_add_f16_e32 v23, v60, v23
	v_add_f16_e32 v27, v63, v42
	;; [unrolled: 1-line block ×6, first 2 shown]
	v_fmac_f16_e32 v17, 0x3aee, v40
	v_fmac_f16_e32 v70, 0xbaee, v39
	v_fmamk_f16 v38, v61, 0x3aee, v71
	v_fmac_f16_e32 v71, 0xbaee, v61
	v_fmamk_f16 v39, v67, 0xbaee, v14
	;; [unrolled: 2-line block ×3, first 2 shown]
	v_fmac_f16_e32 v72, 0xbaee, v66
	v_fmac_f16_e32 v74, 0xbaee, v79
	v_fmamk_f16 v42, v24, 0xbaee, v15
	v_fmac_f16_e32 v15, 0x3aee, v24
	v_fmamk_f16 v24, v76, 0x3aee, v73
	v_fmac_f16_e32 v73, 0xbaee, v76
	ds_write_b16 v47, v26
	ds_write_b16 v47, v33 offset:32
	ds_write_b16 v47, v18 offset:64
	ds_write_b16 v51, v30
	ds_write_b16 v51, v34 offset:32
	ds_write_b16 v51, v17 offset:64
	;; [unrolled: 3-line block ×6, first 2 shown]
	s_waitcnt lgkmcnt(0)
	s_barrier
	buffer_gl0_inv
	ds_read_u16 v16, v9 offset:1568
	ds_read_u16 v30, v9 offset:1680
	ds_read_u16 v32, v9
	ds_read_u16 v33, v9 offset:112
	ds_read_u16 v34, v9 offset:224
	;; [unrolled: 1-line block ×15, first 2 shown]
	s_waitcnt lgkmcnt(0)
	s_barrier
	buffer_gl0_inv
	ds_write_b16 v47, v28
	ds_write_b16 v47, v35 offset:32
	ds_write_b16 v47, v69 offset:64
	ds_write_b16 v51, v31
	ds_write_b16 v51, v36 offset:32
	ds_write_b16 v51, v70 offset:64
	;; [unrolled: 3-line block ×6, first 2 shown]
	v_mul_lo_u16 v4, v55, 48
	v_sub_nc_u16 v5, v11, v56
	v_mul_lo_u16 v17, v57, 48
	v_lshlrev_b32_sdwa v11, v46, v44 dst_sel:DWORD dst_unused:UNUSED_PAD src0_sel:DWORD src1_sel:BYTE_0
	s_waitcnt lgkmcnt(0)
	v_sub_nc_u16 v10, v10, v4
	v_lshlrev_b32_sdwa v4, v46, v5 dst_sel:DWORD dst_unused:UNUSED_PAD src0_sel:DWORD src1_sel:BYTE_0
	v_sub_nc_u16 v17, v12, v17
	s_barrier
	buffer_gl0_inv
	v_lshlrev_b32_sdwa v18, v46, v10 dst_sel:DWORD dst_unused:UNUSED_PAD src0_sel:DWORD src1_sel:WORD_0
	s_clause 0x3
	global_load_dwordx2 v[14:15], v[19:20], off offset:184
	global_load_dwordx2 v[24:25], v11, s[8:9] offset:184
	global_load_dwordx2 v[22:23], v45, s[8:9] offset:184
	;; [unrolled: 1-line block ×3, first 2 shown]
	v_lshlrev_b32_sdwa v4, v46, v17 dst_sel:DWORD dst_unused:UNUSED_PAD src0_sel:DWORD src1_sel:WORD_0
	s_clause 0x1
	global_load_dwordx2 v[26:27], v18, s[8:9] offset:184
	global_load_dwordx2 v[28:29], v4, s[8:9] offset:184
	v_cndmask_b32_e64 v4, 0, 0x120, s0
	v_mov_b32_e32 v18, 0x120
	v_mov_b32_e32 v19, 1
	v_mul_u32_u24_e32 v20, 0x120, v57
	v_cmp_gt_u32_e64 s0, 32, v0
	v_add3_u32 v4, 0, v4, v6
	v_mul_u32_u24_e32 v6, 0x120, v55
	v_mul_u32_u24_sdwa v21, v48, v18 dst_sel:DWORD dst_unused:UNUSED_PAD src0_sel:WORD_0 src1_sel:DWORD
	v_mul_u32_u24_sdwa v31, v49, v18 dst_sel:DWORD dst_unused:UNUSED_PAD src0_sel:WORD_0 src1_sel:DWORD
	;; [unrolled: 1-line block ×3, first 2 shown]
	v_lshlrev_b32_sdwa v10, v19, v10 dst_sel:DWORD dst_unused:UNUSED_PAD src0_sel:DWORD src1_sel:WORD_0
	v_lshlrev_b32_sdwa v17, v19, v17 dst_sel:DWORD dst_unused:UNUSED_PAD src0_sel:DWORD src1_sel:WORD_0
	v_lshlrev_b32_sdwa v35, v19, v58 dst_sel:DWORD dst_unused:UNUSED_PAD src0_sel:DWORD src1_sel:BYTE_0
	v_lshlrev_b32_sdwa v37, v19, v44 dst_sel:DWORD dst_unused:UNUSED_PAD src0_sel:DWORD src1_sel:BYTE_0
	;; [unrolled: 1-line block ×3, first 2 shown]
	v_add3_u32 v19, 0, v6, v10
	v_add3_u32 v5, 0, v20, v17
	;; [unrolled: 1-line block ×5, first 2 shown]
	ds_read_u16 v31, v9 offset:672
	ds_read_u16 v35, v9 offset:784
	;; [unrolled: 1-line block ×7, first 2 shown]
	ds_read_u16 v40, v9
	ds_read_u16 v39, v9 offset:112
	ds_read_u16 v38, v9 offset:224
	;; [unrolled: 1-line block ×10, first 2 shown]
	s_waitcnt vmcnt(0) lgkmcnt(0)
	s_barrier
	buffer_gl0_inv
	v_mul_f16_sdwa v53, v31, v14 dst_sel:DWORD dst_unused:UNUSED_PAD src0_sel:DWORD src1_sel:WORD_1
	v_mul_f16_sdwa v54, v47, v15 dst_sel:DWORD dst_unused:UNUSED_PAD src0_sel:DWORD src1_sel:WORD_1
	;; [unrolled: 1-line block ×16, first 2 shown]
	v_fmac_f16_e32 v53, v59, v14
	v_fmac_f16_e32 v54, v61, v15
	v_mul_f16_sdwa v73, v60, v22 dst_sel:DWORD dst_unused:UNUSED_PAD src0_sel:DWORD src1_sel:WORD_1
	v_mul_f16_sdwa v74, v67, v23 dst_sel:DWORD dst_unused:UNUSED_PAD src0_sel:DWORD src1_sel:WORD_1
	;; [unrolled: 1-line block ×6, first 2 shown]
	v_fmac_f16_e32 v51, v60, v22
	v_fmac_f16_e32 v52, v67, v23
	;; [unrolled: 1-line block ×8, first 2 shown]
	v_mul_f16_sdwa v83, v68, v28 dst_sel:DWORD dst_unused:UNUSED_PAD src0_sel:DWORD src1_sel:WORD_1
	v_mul_f16_sdwa v84, v76, v29 dst_sel:DWORD dst_unused:UNUSED_PAD src0_sel:DWORD src1_sel:WORD_1
	v_fmac_f16_e32 v41, v68, v28
	v_fmac_f16_e32 v42, v76, v29
	v_fma_f16 v62, v31, v14, -v56
	v_fma_f16 v59, v47, v15, -v58
	;; [unrolled: 1-line block ×4, first 2 shown]
	v_add_f16_e32 v12, v53, v54
	v_fma_f16 v61, v35, v22, -v73
	v_fma_f16 v60, v48, v23, -v74
	;; [unrolled: 1-line block ×6, first 2 shown]
	v_add_f16_e32 v16, v51, v52
	v_add_f16_e32 v24, v43, v45
	;; [unrolled: 1-line block ×4, first 2 shown]
	v_fma_f16 v50, v69, v28, -v83
	v_fma_f16 v48, v72, v29, -v84
	v_add_f16_e32 v11, v32, v53
	v_add_f16_e32 v64, v41, v42
	v_sub_f16_e32 v14, v62, v59
	v_fmac_f16_e32 v32, -0.5, v12
	v_add_f16_e32 v15, v33, v51
	v_sub_f16_e32 v22, v61, v60
	v_add_f16_e32 v23, v34, v43
	v_sub_f16_e32 v25, v58, v56
	;; [unrolled: 2-line block ×4, first 2 shown]
	v_fmac_f16_e32 v33, -0.5, v16
	v_fmac_f16_e32 v34, -0.5, v24
	;; [unrolled: 1-line block ×4, first 2 shown]
	v_add_f16_e32 v35, v13, v41
	v_sub_f16_e32 v65, v50, v48
	v_add_f16_e32 v16, v11, v54
	v_fmac_f16_e32 v13, -0.5, v64
	v_fmamk_f16 v27, v14, 0xbaee, v32
	v_fmac_f16_e32 v32, 0x3aee, v14
	v_add_f16_e32 v15, v15, v52
	v_add_f16_e32 v23, v23, v45
	;; [unrolled: 1-line block ×4, first 2 shown]
	v_fmamk_f16 v14, v22, 0xbaee, v33
	v_fmac_f16_e32 v33, 0x3aee, v22
	v_fmamk_f16 v22, v25, 0xbaee, v34
	v_fmac_f16_e32 v34, 0x3aee, v25
	v_fmamk_f16 v25, v28, 0xbaee, v63
	v_fmac_f16_e32 v63, 0x3aee, v28
	v_fmamk_f16 v28, v31, 0xbaee, v7
	v_add_f16_e32 v11, v35, v42
	v_fmac_f16_e32 v7, 0x3aee, v31
	v_fmamk_f16 v12, v65, 0xbaee, v13
	v_fmac_f16_e32 v13, 0x3aee, v65
	ds_write_b16 v4, v16
	ds_write_b16 v4, v27 offset:96
	ds_write_b16 v4, v32 offset:192
	ds_write_b16 v36, v15
	ds_write_b16 v36, v14 offset:96
	ds_write_b16 v36, v33 offset:192
	;; [unrolled: 3-line block ×6, first 2 shown]
	s_waitcnt lgkmcnt(0)
	s_barrier
	buffer_gl0_inv
	ds_read_u16 v22, v9
	ds_read_u16 v24, v9 offset:1152
	ds_read_u16 v30, v9 offset:976
	;; [unrolled: 1-line block ×13, first 2 shown]
                                        ; implicit-def: $vgpr15
                                        ; implicit-def: $vgpr16
                                        ; implicit-def: $vgpr14
	s_and_saveexec_b32 s1, s0
	s_cbranch_execz .LBB0_15
; %bb.14:
	ds_read_u16 v7, v9 offset:224
	ds_read_u16 v11, v9 offset:512
	;; [unrolled: 1-line block ×7, first 2 shown]
.LBB0_15:
	s_or_b32 exec_lo, exec_lo, s1
	v_add_f16_e32 v63, v62, v59
	v_sub_f16_e32 v53, v53, v54
	v_add_f16_e32 v54, v61, v60
	v_add_f16_e32 v62, v40, v62
	v_add_f16_e32 v61, v39, v61
	v_fmac_f16_e32 v40, -0.5, v63
	v_sub_f16_e32 v51, v51, v52
	v_fmac_f16_e32 v39, -0.5, v54
	v_add_f16_e32 v52, v62, v59
	v_add_f16_e32 v59, v58, v56
	v_fmamk_f16 v54, v53, 0x3aee, v40
	v_fmac_f16_e32 v40, 0xbaee, v53
	v_add_f16_e32 v53, v61, v60
	v_fmamk_f16 v60, v51, 0x3aee, v39
	v_add_f16_e32 v58, v38, v58
	v_fmac_f16_e32 v39, 0xbaee, v51
	v_add_f16_e32 v51, v57, v55
	v_fmac_f16_e32 v38, -0.5, v59
	v_sub_f16_e32 v43, v43, v45
	v_add_f16_e32 v45, v58, v56
	v_add_f16_e32 v56, v37, v57
	v_fmac_f16_e32 v37, -0.5, v51
	v_sub_f16_e32 v44, v44, v46
	v_add_f16_e32 v51, v49, v47
	v_fmamk_f16 v46, v43, 0x3aee, v38
	v_fmac_f16_e32 v38, 0xbaee, v43
	v_add_f16_e32 v43, v56, v55
	v_fmamk_f16 v55, v44, 0x3aee, v37
	v_fmac_f16_e32 v37, 0xbaee, v44
	v_add_f16_e32 v44, v50, v48
	v_add_f16_e32 v49, v6, v49
	v_fmac_f16_e32 v6, -0.5, v51
	v_sub_f16_e32 v17, v17, v18
	v_add_f16_e32 v18, v10, v50
	v_fmac_f16_e32 v10, -0.5, v44
	v_sub_f16_e32 v41, v41, v42
	v_add_f16_e32 v42, v49, v47
	v_fmamk_f16 v44, v17, 0x3aee, v6
	v_fmac_f16_e32 v6, 0xbaee, v17
	v_add_f16_e32 v17, v18, v48
	v_fmamk_f16 v18, v41, 0x3aee, v10
	v_fmac_f16_e32 v10, 0xbaee, v41
	s_waitcnt lgkmcnt(0)
	s_barrier
	buffer_gl0_inv
	ds_write_b16 v4, v52
	ds_write_b16 v4, v54 offset:96
	ds_write_b16 v4, v40 offset:192
	ds_write_b16 v36, v53
	ds_write_b16 v36, v60 offset:96
	ds_write_b16 v36, v39 offset:192
	;; [unrolled: 3-line block ×6, first 2 shown]
	s_waitcnt lgkmcnt(0)
	s_barrier
	buffer_gl0_inv
	ds_read_u16 v36, v9
	ds_read_u16 v39, v9 offset:1152
	ds_read_u16 v46, v9 offset:976
	;; [unrolled: 1-line block ×13, first 2 shown]
                                        ; implicit-def: $vgpr19
                                        ; implicit-def: $vgpr21
                                        ; implicit-def: $vgpr20
	s_and_saveexec_b32 s1, s0
	s_cbranch_execz .LBB0_17
; %bb.16:
	ds_read_u16 v6, v9 offset:224
	ds_read_u16 v17, v9 offset:512
	;; [unrolled: 1-line block ×7, first 2 shown]
.LBB0_17:
	s_or_b32 exec_lo, exec_lo, s1
	s_and_saveexec_b32 s1, vcc_lo
	s_cbranch_execz .LBB0_20
; %bb.18:
	v_mul_u32_u24_e32 v1, 6, v1
	v_add_co_u32 v9, vcc_lo, s2, v2
	v_add_co_ci_u32_e32 v38, vcc_lo, s3, v3, vcc_lo
	v_lshlrev_b32_e32 v1, 2, v1
	s_clause 0x1
	global_load_dwordx4 v[51:54], v1, s[8:9] offset:568
	global_load_dwordx2 v[59:60], v1, s[8:9] offset:584
	v_mul_u32_u24_e32 v1, 6, v0
	v_lshlrev_b32_e32 v1, 2, v1
	s_clause 0x1
	global_load_dwordx4 v[55:58], v1, s[8:9] offset:568
	global_load_dwordx2 v[61:62], v1, s[8:9] offset:584
	v_mov_b32_e32 v1, 0
	v_lshlrev_b64 v[4:5], 2, v[0:1]
	v_add_co_u32 v2, vcc_lo, v9, v4
	v_add_co_ci_u32_e32 v3, vcc_lo, v38, v5, vcc_lo
	v_add_co_u32 v4, vcc_lo, 0x800, v2
	v_add_co_ci_u32_e32 v5, vcc_lo, 0, v3, vcc_lo
	s_waitcnt vmcnt(3) lgkmcnt(7)
	v_mul_f16_sdwa v63, v47, v51 dst_sel:DWORD dst_unused:UNUSED_PAD src0_sel:DWORD src1_sel:WORD_1
	s_waitcnt vmcnt(2) lgkmcnt(4)
	v_mul_f16_sdwa v64, v49, v60 dst_sel:DWORD dst_unused:UNUSED_PAD src0_sel:DWORD src1_sel:WORD_1
	s_waitcnt lgkmcnt(0)
	v_mul_f16_sdwa v65, v50, v54 dst_sel:DWORD dst_unused:UNUSED_PAD src0_sel:DWORD src1_sel:WORD_1
	v_mul_f16_sdwa v66, v46, v53 dst_sel:DWORD dst_unused:UNUSED_PAD src0_sel:DWORD src1_sel:WORD_1
	;; [unrolled: 1-line block ×10, first 2 shown]
	s_waitcnt vmcnt(1)
	v_mul_f16_sdwa v75, v42, v55 dst_sel:DWORD dst_unused:UNUSED_PAD src0_sel:DWORD src1_sel:WORD_1
	s_waitcnt vmcnt(0)
	v_mul_f16_sdwa v76, v45, v62 dst_sel:DWORD dst_unused:UNUSED_PAD src0_sel:DWORD src1_sel:WORD_1
	v_mul_f16_sdwa v77, v39, v58 dst_sel:DWORD dst_unused:UNUSED_PAD src0_sel:DWORD src1_sel:WORD_1
	;; [unrolled: 1-line block ×11, first 2 shown]
	v_fmac_f16_e32 v63, v32, v51
	v_fmac_f16_e32 v64, v34, v60
	;; [unrolled: 1-line block ×6, first 2 shown]
	v_fma_f16 v30, v49, v60, -v69
	v_fma_f16 v31, v47, v51, -v70
	;; [unrolled: 1-line block ×6, first 2 shown]
	v_fmac_f16_e32 v75, v27, v55
	v_fmac_f16_e32 v76, v29, v62
	v_fmac_f16_e32 v77, v24, v58
	v_fmac_f16_e32 v78, v25, v57
	v_fmac_f16_e32 v79, v26, v56
	v_fmac_f16_e32 v80, v28, v61
	v_fma_f16 v24, v45, v62, -v81
	v_fma_f16 v25, v42, v55, -v82
	;; [unrolled: 1-line block ×6, first 2 shown]
	v_sub_f16_e32 v39, v63, v64
	v_sub_f16_e32 v40, v65, v66
	;; [unrolled: 1-line block ×3, first 2 shown]
	v_add_f16_e32 v42, v31, v30
	v_add_f16_e32 v43, v33, v32
	;; [unrolled: 1-line block ×6, first 2 shown]
	v_sub_f16_e32 v30, v31, v30
	v_sub_f16_e32 v31, v33, v32
	;; [unrolled: 1-line block ×3, first 2 shown]
	v_add_f16_e32 v48, v25, v24
	v_add_f16_e32 v50, v29, v28
	;; [unrolled: 1-line block ×4, first 2 shown]
	v_sub_f16_e32 v33, v75, v76
	v_sub_f16_e32 v34, v77, v78
	;; [unrolled: 1-line block ×3, first 2 shown]
	v_add_f16_e32 v49, v27, v26
	v_add_f16_e32 v52, v77, v78
	v_sub_f16_e32 v24, v25, v24
	v_sub_f16_e32 v25, v27, v26
	;; [unrolled: 1-line block ×5, first 2 shown]
	v_add_f16_e32 v29, v40, v41
	v_sub_f16_e32 v40, v42, v43
	v_sub_f16_e32 v54, v43, v44
	v_add_f16_e32 v55, v42, v44
	v_sub_f16_e32 v56, v45, v46
	v_sub_f16_e32 v57, v46, v47
	;; [unrolled: 3-line block ×4, first 2 shown]
	v_add_f16_e32 v63, v48, v50
	v_add_f16_e32 v66, v51, v53
	v_sub_f16_e32 v42, v44, v42
	v_sub_f16_e32 v44, v47, v45
	;; [unrolled: 1-line block ×4, first 2 shown]
	v_add_f16_e32 v34, v34, v35
	v_sub_f16_e32 v61, v48, v49
	v_sub_f16_e32 v62, v49, v50
	;; [unrolled: 1-line block ×6, first 2 shown]
	v_add_f16_e32 v25, v25, v26
	v_sub_f16_e32 v35, v35, v33
	v_sub_f16_e32 v48, v50, v48
	;; [unrolled: 1-line block ×4, first 2 shown]
	v_mul_f16_e32 v28, 0x3846, v28
	v_add_f16_e32 v29, v39, v29
	v_mul_f16_e32 v39, 0x3a52, v40
	v_mul_f16_e32 v51, 0x2b26, v54
	v_add_f16_e32 v43, v43, v55
	v_mul_f16_e32 v53, 0x3a52, v56
	v_mul_f16_e32 v54, 0x2b26, v57
	v_add_f16_e32 v46, v46, v58
	v_mul_f16_e32 v55, 0x3846, v60
	v_add_f16_e32 v30, v30, v31
	v_mul_f16_e32 v31, 0xbb00, v41
	v_mul_f16_e32 v57, 0xbb00, v32
	v_add_f16_e32 v49, v49, v63
	v_add_f16_e32 v52, v52, v66
	v_mul_f16_e32 v47, 0x3846, v47
	v_add_f16_e32 v33, v33, v34
	v_mul_f16_e32 v34, 0x3a52, v61
	v_mul_f16_e32 v58, 0x2b26, v62
	;; [unrolled: 1-line block ×4, first 2 shown]
	v_add_f16_e32 v24, v24, v25
	v_mul_f16_e32 v25, 0xbb00, v35
	v_mul_f16_e32 v65, 0xbb00, v26
	v_fmamk_f16 v66, v27, 0xb574, v28
	v_add_f16_e32 v37, v37, v43
	v_add_f16_e32 v23, v23, v46
	v_fmamk_f16 v68, v59, 0xb574, v55
	v_fma_f16 v27, v27, 0x3574, -v31
	v_fma_f16 v31, v42, 0xb9e0, -v39
	;; [unrolled: 1-line block ×6, first 2 shown]
	v_add_f16_e32 v36, v36, v49
	v_add_f16_e32 v22, v22, v52
	v_mul_f16_e32 v60, 0x3a52, v64
	v_fmamk_f16 v40, v40, 0x3a52, v51
	v_fmamk_f16 v56, v56, 0x3a52, v54
	v_fma_f16 v42, v42, 0x39e0, -v51
	v_fma_f16 v41, v44, 0x39e0, -v54
	v_fmamk_f16 v44, v45, 0xb574, v47
	v_fmamk_f16 v51, v61, 0x3a52, v58
	;; [unrolled: 1-line block ×4, first 2 shown]
	v_fma_f16 v25, v45, 0x3574, -v25
	v_fma_f16 v34, v48, 0xb9e0, -v34
	v_fma_f16 v57, v67, 0x3574, -v65
	v_fma_f16 v48, v48, 0x39e0, -v58
	v_fma_f16 v35, v35, 0xbb00, -v47
	v_fma_f16 v26, v26, 0xbb00, -v63
	v_fmac_f16_e32 v66, 0xb70e, v29
	v_fmamk_f16 v43, v43, 0xbcab, v37
	v_fmamk_f16 v46, v46, 0xbcab, v23
	v_fmac_f16_e32 v68, 0xb70e, v30
	v_fmac_f16_e32 v27, 0xb70e, v29
	;; [unrolled: 1-line block ×5, first 2 shown]
	v_fmamk_f16 v29, v49, 0xbcab, v36
	v_fmamk_f16 v30, v52, 0xbcab, v22
	v_fma_f16 v45, v50, 0xb9e0, -v60
	v_fma_f16 v47, v50, 0x39e0, -v62
	v_fmac_f16_e32 v44, 0xb70e, v33
	v_fmac_f16_e32 v55, 0xb70e, v24
	;; [unrolled: 1-line block ×6, first 2 shown]
	v_pack_b32_f16 v22, v22, v36
	v_add_f16_e32 v24, v40, v43
	v_add_f16_e32 v36, v39, v46
	;; [unrolled: 1-line block ×7, first 2 shown]
	v_pack_b32_f16 v23, v23, v37
	v_add_f16_e32 v31, v31, v43
	v_add_f16_e32 v37, v42, v43
	;; [unrolled: 1-line block ×6, first 2 shown]
	v_sub_f16_e32 v32, v39, v32
	v_add_f16_e32 v39, v25, v34
	v_sub_f16_e32 v48, v29, v35
	v_add_f16_e32 v29, v35, v29
	v_sub_f16_e32 v25, v34, v25
	v_sub_f16_e32 v34, v40, v44
	v_add_f16_e32 v35, v55, v41
	v_add_f16_e32 v43, v27, v31
	v_sub_f16_e32 v45, v36, v53
	v_sub_f16_e32 v27, v31, v27
	v_add_f16_e32 v31, v53, v36
	v_add_f16_e32 v36, v44, v40
	;; [unrolled: 1-line block ×3, first 2 shown]
	v_sub_f16_e32 v46, v37, v28
	v_add_f16_e32 v28, v28, v37
	v_sub_f16_e32 v37, v41, v55
	v_sub_f16_e32 v41, v30, v26
	v_add_f16_e32 v26, v26, v30
	v_sub_f16_e32 v30, v42, v57
	global_store_dword v[2:3], v22, off
	global_store_dword v[2:3], v23, off offset:224
	v_add_f16_e32 v22, v66, v24
	v_sub_f16_e32 v23, v33, v68
	v_sub_f16_e32 v24, v24, v66
	v_add_f16_e32 v33, v68, v33
	v_pack_b32_f16 v34, v35, v34
	v_pack_b32_f16 v25, v40, v25
	;; [unrolled: 1-line block ×12, first 2 shown]
	global_store_dword v[2:3], v34, off offset:576
	global_store_dword v[2:3], v25, off offset:1152
	;; [unrolled: 1-line block ×12, first 2 shown]
	s_and_b32 exec_lo, exec_lo, s0
	s_cbranch_execz .LBB0_20
; %bb.19:
	v_subrev_nc_u32_e32 v22, 32, v0
	v_mov_b32_e32 v23, v1
	v_or_b32_e32 v28, 0x220, v0
	v_mov_b32_e32 v29, v1
	v_or_b32_e32 v0, 0x340, v0
	v_cndmask_b32_e64 v8, v22, v8, s0
	v_lshlrev_b64 v[28:29], 2, v[28:29]
	v_lshlrev_b64 v[0:1], 2, v[0:1]
	v_mul_i32_i24_e32 v22, 6, v8
	v_lshlrev_b64 v[22:23], 2, v[22:23]
	v_add_co_u32 v26, vcc_lo, s8, v22
	v_add_co_ci_u32_e32 v27, vcc_lo, s9, v23, vcc_lo
	v_add_co_u32 v28, vcc_lo, v9, v28
	v_add_co_ci_u32_e32 v29, vcc_lo, v38, v29, vcc_lo
	s_clause 0x1
	global_load_dwordx4 v[22:25], v[26:27], off offset:568
	global_load_dwordx2 v[26:27], v[26:27], off offset:584
	v_add_co_u32 v0, vcc_lo, v9, v0
	v_add_co_ci_u32_e32 v1, vcc_lo, v38, v1, vcc_lo
	s_waitcnt vmcnt(1)
	v_mul_f16_sdwa v8, v17, v22 dst_sel:DWORD dst_unused:UNUSED_PAD src0_sel:DWORD src1_sel:WORD_1
	v_mul_f16_sdwa v9, v11, v22 dst_sel:DWORD dst_unused:UNUSED_PAD src0_sel:DWORD src1_sel:WORD_1
	;; [unrolled: 1-line block ×4, first 2 shown]
	s_waitcnt vmcnt(0)
	v_mul_f16_sdwa v36, v20, v26 dst_sel:DWORD dst_unused:UNUSED_PAD src0_sel:DWORD src1_sel:WORD_1
	v_mul_f16_sdwa v37, v14, v26 dst_sel:DWORD dst_unused:UNUSED_PAD src0_sel:DWORD src1_sel:WORD_1
	;; [unrolled: 1-line block ×8, first 2 shown]
	v_fmac_f16_e32 v8, v11, v22
	v_fma_f16 v9, v17, v22, -v9
	v_fmac_f16_e32 v30, v12, v23
	v_fma_f16 v11, v18, v23, -v31
	;; [unrolled: 2-line block ×6, first 2 shown]
	v_add_f16_e32 v15, v8, v38
	v_add_f16_e32 v16, v9, v12
	v_sub_f16_e32 v9, v9, v12
	v_add_f16_e32 v12, v30, v36
	v_add_f16_e32 v17, v11, v14
	v_sub_f16_e32 v8, v8, v38
	v_sub_f16_e32 v18, v30, v36
	;; [unrolled: 1-line block ×3, first 2 shown]
	v_add_f16_e32 v14, v32, v34
	v_add_f16_e32 v19, v10, v13
	v_sub_f16_e32 v20, v34, v32
	v_sub_f16_e32 v10, v13, v10
	v_add_f16_e32 v13, v12, v15
	v_add_f16_e32 v21, v17, v16
	v_sub_f16_e32 v22, v12, v15
	v_sub_f16_e32 v23, v17, v16
	;; [unrolled: 1-line block ×6, first 2 shown]
	v_add_f16_e32 v24, v20, v18
	v_add_f16_e32 v25, v10, v11
	v_sub_f16_e32 v26, v20, v18
	v_sub_f16_e32 v27, v10, v11
	;; [unrolled: 1-line block ×3, first 2 shown]
	v_add_f16_e32 v13, v14, v13
	v_add_f16_e32 v14, v19, v21
	v_sub_f16_e32 v11, v11, v9
	v_sub_f16_e32 v20, v8, v20
	;; [unrolled: 1-line block ×3, first 2 shown]
	v_add_f16_e32 v8, v24, v8
	v_add_f16_e32 v9, v25, v9
	v_mul_f16_e32 v15, 0x3a52, v15
	v_mul_f16_e32 v16, 0x3a52, v16
	;; [unrolled: 1-line block ×7, first 2 shown]
	v_add_f16_e32 v7, v7, v13
	v_add_f16_e32 v6, v6, v14
	v_mul_f16_e32 v27, 0xbb00, v11
	v_fmamk_f16 v12, v12, 0x2b26, v15
	v_fmamk_f16 v17, v17, 0x2b26, v16
	v_fma_f16 v19, v22, 0x39e0, -v19
	v_fma_f16 v21, v23, 0x39e0, -v21
	;; [unrolled: 1-line block ×4, first 2 shown]
	v_fmamk_f16 v22, v20, 0xb574, v24
	v_fmamk_f16 v23, v10, 0xb574, v25
	v_fma_f16 v18, v18, 0xbb00, -v24
	v_fma_f16 v20, v20, 0x3574, -v26
	v_fmamk_f16 v13, v13, 0xbcab, v7
	v_fmamk_f16 v14, v14, 0xbcab, v6
	v_fma_f16 v11, v11, 0xbb00, -v25
	v_fma_f16 v10, v10, 0x3574, -v27
	v_fmac_f16_e32 v22, 0xb70e, v8
	v_fmac_f16_e32 v23, 0xb70e, v9
	;; [unrolled: 1-line block ×4, first 2 shown]
	v_pack_b32_f16 v6, v7, v6
	v_add_f16_e32 v7, v12, v13
	v_add_f16_e32 v8, v17, v14
	v_fmac_f16_e32 v11, 0xb70e, v9
	v_fmac_f16_e32 v10, 0xb70e, v9
	v_add_f16_e32 v9, v19, v13
	v_add_f16_e32 v12, v21, v14
	;; [unrolled: 1-line block ×4, first 2 shown]
	global_store_dword v[2:3], v6, off offset:448
	v_add_f16_e32 v6, v23, v7
	v_sub_f16_e32 v15, v8, v22
	v_add_f16_e32 v16, v10, v13
	v_sub_f16_e32 v17, v14, v20
	v_sub_f16_e32 v19, v9, v11
	v_add_f16_e32 v21, v18, v12
	v_add_f16_e32 v9, v11, v9
	v_sub_f16_e32 v11, v12, v18
	v_sub_f16_e32 v10, v13, v10
	v_add_f16_e32 v12, v20, v14
	v_sub_f16_e32 v7, v7, v23
	v_add_f16_e32 v8, v22, v8
	v_pack_b32_f16 v6, v6, v15
	v_pack_b32_f16 v13, v16, v17
	;; [unrolled: 1-line block ×6, first 2 shown]
	global_store_dword v[2:3], v6, off offset:1024
	global_store_dword v[2:3], v13, off offset:1600
	global_store_dword v[28:29], v14, off
	global_store_dword v[4:5], v9, off offset:704
	global_store_dword v[0:1], v10, off
	global_store_dword v[4:5], v7, off offset:1856
.LBB0_20:
	s_endpgm
	.section	.rodata,"a",@progbits
	.p2align	6, 0x0
	.amdhsa_kernel fft_rtc_back_len1008_factors_2_2_2_2_3_3_7_wgs_56_tpt_56_halfLds_half_ip_CI_unitstride_sbrr_dirReg
		.amdhsa_group_segment_fixed_size 0
		.amdhsa_private_segment_fixed_size 0
		.amdhsa_kernarg_size 88
		.amdhsa_user_sgpr_count 6
		.amdhsa_user_sgpr_private_segment_buffer 1
		.amdhsa_user_sgpr_dispatch_ptr 0
		.amdhsa_user_sgpr_queue_ptr 0
		.amdhsa_user_sgpr_kernarg_segment_ptr 1
		.amdhsa_user_sgpr_dispatch_id 0
		.amdhsa_user_sgpr_flat_scratch_init 0
		.amdhsa_user_sgpr_private_segment_size 0
		.amdhsa_wavefront_size32 1
		.amdhsa_uses_dynamic_stack 0
		.amdhsa_system_sgpr_private_segment_wavefront_offset 0
		.amdhsa_system_sgpr_workgroup_id_x 1
		.amdhsa_system_sgpr_workgroup_id_y 0
		.amdhsa_system_sgpr_workgroup_id_z 0
		.amdhsa_system_sgpr_workgroup_info 0
		.amdhsa_system_vgpr_workitem_id 0
		.amdhsa_next_free_vgpr 92
		.amdhsa_next_free_sgpr 21
		.amdhsa_reserve_vcc 1
		.amdhsa_reserve_flat_scratch 0
		.amdhsa_float_round_mode_32 0
		.amdhsa_float_round_mode_16_64 0
		.amdhsa_float_denorm_mode_32 3
		.amdhsa_float_denorm_mode_16_64 3
		.amdhsa_dx10_clamp 1
		.amdhsa_ieee_mode 1
		.amdhsa_fp16_overflow 0
		.amdhsa_workgroup_processor_mode 1
		.amdhsa_memory_ordered 1
		.amdhsa_forward_progress 0
		.amdhsa_shared_vgpr_count 0
		.amdhsa_exception_fp_ieee_invalid_op 0
		.amdhsa_exception_fp_denorm_src 0
		.amdhsa_exception_fp_ieee_div_zero 0
		.amdhsa_exception_fp_ieee_overflow 0
		.amdhsa_exception_fp_ieee_underflow 0
		.amdhsa_exception_fp_ieee_inexact 0
		.amdhsa_exception_int_div_zero 0
	.end_amdhsa_kernel
	.text
.Lfunc_end0:
	.size	fft_rtc_back_len1008_factors_2_2_2_2_3_3_7_wgs_56_tpt_56_halfLds_half_ip_CI_unitstride_sbrr_dirReg, .Lfunc_end0-fft_rtc_back_len1008_factors_2_2_2_2_3_3_7_wgs_56_tpt_56_halfLds_half_ip_CI_unitstride_sbrr_dirReg
                                        ; -- End function
	.section	.AMDGPU.csdata,"",@progbits
; Kernel info:
; codeLenInByte = 12640
; NumSgprs: 23
; NumVgprs: 92
; ScratchSize: 0
; MemoryBound: 0
; FloatMode: 240
; IeeeMode: 1
; LDSByteSize: 0 bytes/workgroup (compile time only)
; SGPRBlocks: 2
; VGPRBlocks: 11
; NumSGPRsForWavesPerEU: 23
; NumVGPRsForWavesPerEU: 92
; Occupancy: 10
; WaveLimiterHint : 1
; COMPUTE_PGM_RSRC2:SCRATCH_EN: 0
; COMPUTE_PGM_RSRC2:USER_SGPR: 6
; COMPUTE_PGM_RSRC2:TRAP_HANDLER: 0
; COMPUTE_PGM_RSRC2:TGID_X_EN: 1
; COMPUTE_PGM_RSRC2:TGID_Y_EN: 0
; COMPUTE_PGM_RSRC2:TGID_Z_EN: 0
; COMPUTE_PGM_RSRC2:TIDIG_COMP_CNT: 0
	.text
	.p2alignl 6, 3214868480
	.fill 48, 4, 3214868480
	.type	__hip_cuid_1c1fdee428608f64,@object ; @__hip_cuid_1c1fdee428608f64
	.section	.bss,"aw",@nobits
	.globl	__hip_cuid_1c1fdee428608f64
__hip_cuid_1c1fdee428608f64:
	.byte	0                               ; 0x0
	.size	__hip_cuid_1c1fdee428608f64, 1

	.ident	"AMD clang version 19.0.0git (https://github.com/RadeonOpenCompute/llvm-project roc-6.4.0 25133 c7fe45cf4b819c5991fe208aaa96edf142730f1d)"
	.section	".note.GNU-stack","",@progbits
	.addrsig
	.addrsig_sym __hip_cuid_1c1fdee428608f64
	.amdgpu_metadata
---
amdhsa.kernels:
  - .args:
      - .actual_access:  read_only
        .address_space:  global
        .offset:         0
        .size:           8
        .value_kind:     global_buffer
      - .offset:         8
        .size:           8
        .value_kind:     by_value
      - .actual_access:  read_only
        .address_space:  global
        .offset:         16
        .size:           8
        .value_kind:     global_buffer
      - .actual_access:  read_only
        .address_space:  global
        .offset:         24
        .size:           8
        .value_kind:     global_buffer
      - .offset:         32
        .size:           8
        .value_kind:     by_value
      - .actual_access:  read_only
        .address_space:  global
        .offset:         40
        .size:           8
        .value_kind:     global_buffer
      - .actual_access:  read_only
        .address_space:  global
        .offset:         48
        .size:           8
        .value_kind:     global_buffer
      - .offset:         56
        .size:           4
        .value_kind:     by_value
      - .actual_access:  read_only
        .address_space:  global
        .offset:         64
        .size:           8
        .value_kind:     global_buffer
      - .actual_access:  read_only
        .address_space:  global
        .offset:         72
        .size:           8
        .value_kind:     global_buffer
      - .address_space:  global
        .offset:         80
        .size:           8
        .value_kind:     global_buffer
    .group_segment_fixed_size: 0
    .kernarg_segment_align: 8
    .kernarg_segment_size: 88
    .language:       OpenCL C
    .language_version:
      - 2
      - 0
    .max_flat_workgroup_size: 56
    .name:           fft_rtc_back_len1008_factors_2_2_2_2_3_3_7_wgs_56_tpt_56_halfLds_half_ip_CI_unitstride_sbrr_dirReg
    .private_segment_fixed_size: 0
    .sgpr_count:     23
    .sgpr_spill_count: 0
    .symbol:         fft_rtc_back_len1008_factors_2_2_2_2_3_3_7_wgs_56_tpt_56_halfLds_half_ip_CI_unitstride_sbrr_dirReg.kd
    .uniform_work_group_size: 1
    .uses_dynamic_stack: false
    .vgpr_count:     92
    .vgpr_spill_count: 0
    .wavefront_size: 32
    .workgroup_processor_mode: 1
amdhsa.target:   amdgcn-amd-amdhsa--gfx1030
amdhsa.version:
  - 1
  - 2
...

	.end_amdgpu_metadata
